;; amdgpu-corpus repo=ROCm/rocFFT kind=compiled arch=gfx950 opt=O3
	.text
	.amdgcn_target "amdgcn-amd-amdhsa--gfx950"
	.amdhsa_code_object_version 6
	.protected	fft_rtc_back_len104_factors_4_13_2_wgs_208_tpt_26_dim2_dp_ip_CI_sbcc_twdbase8_3step_dirReg_intrinsicReadWrite ; -- Begin function fft_rtc_back_len104_factors_4_13_2_wgs_208_tpt_26_dim2_dp_ip_CI_sbcc_twdbase8_3step_dirReg_intrinsicReadWrite
	.globl	fft_rtc_back_len104_factors_4_13_2_wgs_208_tpt_26_dim2_dp_ip_CI_sbcc_twdbase8_3step_dirReg_intrinsicReadWrite
	.p2align	8
	.type	fft_rtc_back_len104_factors_4_13_2_wgs_208_tpt_26_dim2_dp_ip_CI_sbcc_twdbase8_3step_dirReg_intrinsicReadWrite,@function
fft_rtc_back_len104_factors_4_13_2_wgs_208_tpt_26_dim2_dp_ip_CI_sbcc_twdbase8_3step_dirReg_intrinsicReadWrite: ; @fft_rtc_back_len104_factors_4_13_2_wgs_208_tpt_26_dim2_dp_ip_CI_sbcc_twdbase8_3step_dirReg_intrinsicReadWrite
; %bb.0:
	s_load_dwordx4 s[4:7], s[0:1], 0x10
	s_mov_b32 s3, 0
	s_mov_b64 s[14:15], 0
	s_waitcnt lgkmcnt(0)
	s_load_dwordx2 s[10:11], s[4:5], 0x8
	s_load_dwordx2 s[8:9], s[0:1], 0x50
	s_nop 0
	s_load_dwordx2 s[4:5], s[6:7], 0x0
	s_waitcnt lgkmcnt(0)
	s_add_u32 s12, s10, -1
	s_addc_u32 s13, s11, -1
	s_lshr_b64 s[12:13], s[12:13], 3
	s_add_u32 s12, s12, 1
	s_addc_u32 s13, s13, 0
	v_mov_b64_e32 v[2:3], s[12:13]
	v_cmp_lt_u64_e32 vcc, s[2:3], v[2:3]
	s_cbranch_vccnz .LBB0_2
; %bb.1:
	v_cvt_f32_u32_e32 v1, s12
	s_sub_i32 s3, 0, s12
	v_rcp_iflag_f32_e32 v1, v1
	s_nop 0
	v_mul_f32_e32 v1, 0x4f7ffffe, v1
	v_cvt_u32_f32_e32 v1, v1
	s_nop 0
	v_readfirstlane_b32 s5, v1
	s_mul_i32 s3, s3, s5
	s_mul_hi_u32 s3, s5, s3
	s_add_i32 s5, s5, s3
	s_mul_hi_u32 s3, s2, s5
	s_mul_i32 s14, s3, s12
	s_sub_i32 s14, s2, s14
	s_add_i32 s5, s3, 1
	s_sub_i32 s15, s14, s12
	s_cmp_ge_u32 s14, s12
	s_cselect_b32 s3, s5, s3
	s_cselect_b32 s14, s15, s14
	s_add_i32 s5, s3, 1
	s_cmp_ge_u32 s14, s12
	s_cselect_b32 s14, s5, s3
.LBB0_2:
	s_mul_i32 s3, s14, s13
	s_mul_hi_u32 s5, s14, s12
	s_load_dwordx4 s[16:19], s[6:7], 0x8
	s_add_i32 s5, s5, s3
	s_mul_i32 s3, s14, s12
	s_sub_u32 s2, s2, s3
	s_subb_u32 s3, 0, s5
	s_lshl_b64 s[6:7], s[2:3], 3
	v_mov_b32_e32 v1, s2
	v_alignbit_b32 v1, s3, v1, 29
	s_waitcnt lgkmcnt(0)
	s_mul_i32 s2, s6, s17
	s_mul_hi_u32 s3, s6, s16
	v_mul_lo_u32 v1, v1, s16
	s_add_i32 s3, s3, s2
	s_mul_i32 s2, s6, s16
	v_add_u32_e32 v3, s3, v1
	v_mov_b32_e32 v2, s2
	s_mul_i32 s2, s19, s14
	s_mul_hi_u32 s3, s18, s14
	s_add_i32 s3, s3, s2
	s_mul_i32 s2, s18, s14
	v_lshl_add_u64 v[58:59], s[2:3], 0, v[2:3]
	s_add_u32 s2, s6, 8
	v_and_b32_e32 v18, 7, v0
	s_addc_u32 s3, s7, 0
	v_mov_b64_e32 v[2:3], s[10:11]
	v_or_b32_e32 v62, s6, v18
	v_mov_b32_e32 v63, s7
	v_cmp_le_u64_e32 vcc, s[2:3], v[2:3]
	v_mad_u64_u32 v[60:61], s[2:3], s16, v18, 0
	v_cmp_gt_u64_e64 s[2:3], s[10:11], v[62:63]
	v_mov_b64_e32 v[4:5], 0
	v_lshrrev_b32_e32 v59, 3, v0
	s_or_b64 s[6:7], vcc, s[2:3]
	v_mov_b64_e32 v[8:9], v[4:5]
	v_mov_b64_e32 v[6:7], v[4:5]
	s_and_saveexec_b64 s[2:3], s[6:7]
	s_cbranch_execz .LBB0_4
; %bb.3:
	v_mul_lo_u32 v1, s4, v59
	v_add3_u32 v2, v58, v60, v1
	v_mov_b32_e32 v3, 0
	v_lshl_add_u64 v[2:3], v[2:3], 4, s[8:9]
	global_load_dwordx4 v[6:9], v[2:3], off
.LBB0_4:
	s_or_b64 exec, exec, s[2:3]
	v_add_u32_e32 v1, 26, v59
	v_mov_b64_e32 v[2:3], v[4:5]
	s_and_saveexec_b64 s[2:3], s[6:7]
	s_cbranch_execz .LBB0_6
; %bb.5:
	v_mul_lo_u32 v2, s4, v1
	v_add3_u32 v2, v58, v60, v2
	v_mov_b32_e32 v3, 0
	v_lshl_add_u64 v[2:3], v[2:3], 4, s[8:9]
	global_load_dwordx4 v[2:5], v[2:3], off
.LBB0_6:
	s_or_b64 exec, exec, s[2:3]
	v_mov_b64_e32 v[12:13], 0
	v_mov_b64_e32 v[16:17], v[12:13]
	;; [unrolled: 1-line block ×3, first 2 shown]
	s_and_saveexec_b64 s[2:3], s[6:7]
	s_cbranch_execz .LBB0_8
; %bb.7:
	v_add_u32_e32 v10, 52, v59
	v_mul_lo_u32 v10, s4, v10
	v_add3_u32 v10, v58, v60, v10
	v_mov_b32_e32 v11, 0
	v_lshl_add_u64 v[10:11], v[10:11], 4, s[8:9]
	global_load_dwordx4 v[14:17], v[10:11], off
.LBB0_8:
	s_or_b64 exec, exec, s[2:3]
	v_mov_b64_e32 v[10:11], v[12:13]
	s_and_saveexec_b64 s[2:3], s[6:7]
	s_cbranch_execz .LBB0_10
; %bb.9:
	v_add_u32_e32 v10, 0x4e, v59
	v_mul_lo_u32 v10, s4, v10
	v_add3_u32 v10, v58, v60, v10
	v_mov_b32_e32 v11, 0
	v_lshl_add_u64 v[10:11], v[10:11], 4, s[8:9]
	global_load_dwordx4 v[10:13], v[10:11], off
.LBB0_10:
	s_or_b64 exec, exec, s[2:3]
	s_load_dwordx2 s[2:3], s[0:1], 0x0
	s_waitcnt vmcnt(0)
	v_add_f64 v[20:21], v[6:7], -v[14:15]
	v_add_f64 v[22:23], v[8:9], -v[16:17]
	;; [unrolled: 1-line block ×4, first 2 shown]
	v_fma_f64 v[14:15], v[6:7], 2.0, -v[20:21]
	v_fma_f64 v[16:17], v[8:9], 2.0, -v[22:23]
	v_fma_f64 v[2:3], v[2:3], 2.0, -v[10:11]
	v_fma_f64 v[4:5], v[4:5], 2.0, -v[12:13]
	v_add_f64 v[6:7], v[14:15], -v[2:3]
	v_add_f64 v[8:9], v[16:17], -v[4:5]
	v_fma_f64 v[2:3], v[14:15], 2.0, -v[6:7]
	v_fma_f64 v[4:5], v[16:17], 2.0, -v[8:9]
	v_add_f64 v[14:15], v[20:21], v[12:13]
	v_add_f64 v[16:17], v[22:23], -v[10:11]
	v_lshlrev_b32_e32 v19, 9, v59
	v_lshlrev_b32_e32 v61, 4, v18
	v_fma_f64 v[10:11], v[20:21], 2.0, -v[14:15]
	v_fma_f64 v[12:13], v[22:23], 2.0, -v[16:17]
	v_add3_u32 v18, 0, v19, v61
	v_cmp_gt_u32_e32 vcc, 64, v0
	ds_write_b128 v18, v[2:5]
	ds_write_b128 v18, v[10:13] offset:128
	ds_write_b128 v18, v[6:9] offset:256
	;; [unrolled: 1-line block ×3, first 2 shown]
	s_waitcnt lgkmcnt(0)
	s_barrier
	s_waitcnt lgkmcnt(0)
                                        ; implicit-def: $vgpr52_vgpr53
                                        ; implicit-def: $vgpr48_vgpr49
                                        ; implicit-def: $vgpr44_vgpr45
                                        ; implicit-def: $vgpr40_vgpr41
                                        ; implicit-def: $vgpr36_vgpr37
                                        ; implicit-def: $vgpr32_vgpr33
                                        ; implicit-def: $vgpr28_vgpr29
                                        ; implicit-def: $vgpr24_vgpr25
                                        ; implicit-def: $vgpr20_vgpr21
	s_and_saveexec_b64 s[10:11], vcc
	s_cbranch_execz .LBB0_12
; %bb.11:
	v_and_b32_e32 v2, 56, v0
	v_lshlrev_b32_e32 v2, 4, v2
	v_add3_u32 v50, 0, v2, v61
	ds_read_b128 v[2:5], v50
	ds_read_b128 v[10:13], v50 offset:1024
	ds_read_b128 v[6:9], v50 offset:2048
	;; [unrolled: 1-line block ×12, first 2 shown]
.LBB0_12:
	s_or_b64 exec, exec, s[10:11]
	s_waitcnt lgkmcnt(0)
	s_barrier
	s_and_saveexec_b64 s[10:11], vcc
	s_cbranch_execz .LBB0_14
; %bb.13:
	v_bfe_u32 v63, v0, 3, 2
	v_mul_u32_u24_e32 v54, 12, v63
	v_lshlrev_b32_e32 v64, 4, v54
	global_load_dwordx4 v[54:57], v64, s[2:3] offset:80
	global_load_dwordx4 v[86:89], v64, s[2:3] offset:96
	;; [unrolled: 1-line block ×10, first 2 shown]
	global_load_dwordx4 v[122:125], v64, s[2:3]
	global_load_dwordx4 v[126:129], v64, s[2:3] offset:176
	s_mov_b32 s18, 0x4bc48dbf
	s_mov_b32 s19, 0xbfcea1e5
	;; [unrolled: 1-line block ×32, first 2 shown]
	s_waitcnt vmcnt(11)
	v_mul_f64 v[64:65], v[28:29], v[56:57]
	v_mul_f64 v[130:131], v[26:27], v[56:57]
	s_waitcnt vmcnt(10)
	v_mul_f64 v[56:57], v[32:33], v[88:89]
	v_mul_f64 v[88:89], v[30:31], v[88:89]
	s_waitcnt vmcnt(8)
	v_mul_f64 v[66:67], v[36:37], v[96:97]
	s_waitcnt vmcnt(6)
	v_mul_f64 v[70:71], v[40:41], v[104:105]
	v_mul_f64 v[96:97], v[34:35], v[96:97]
	s_waitcnt vmcnt(4)
	v_mul_f64 v[74:75], v[44:45], v[112:113]
	;; [unrolled: 3-line block ×3, first 2 shown]
	s_waitcnt vmcnt(1)
	v_mul_f64 v[84:85], v[12:13], v[124:125]
	s_waitcnt vmcnt(0)
	v_mul_f64 v[80:81], v[52:53], v[128:129]
	v_mul_f64 v[76:77], v[48:49], v[120:121]
	;; [unrolled: 1-line block ×4, first 2 shown]
	v_fmac_f64_e32 v[84:85], v[10:11], v[122:123]
	v_fmac_f64_e32 v[80:81], v[50:51], v[126:127]
	v_mul_f64 v[104:105], v[38:39], v[104:105]
	v_mul_f64 v[78:79], v[16:17], v[108:109]
	;; [unrolled: 1-line block ×4, first 2 shown]
	v_fmac_f64_e32 v[70:71], v[38:39], v[102:103]
	v_fmac_f64_e32 v[74:75], v[42:43], v[110:111]
	v_fma_f64 v[42:43], v[44:45], v[110:111], -v[112:113]
	v_fmac_f64_e32 v[82:83], v[6:7], v[114:115]
	v_fmac_f64_e32 v[76:77], v[46:47], v[118:119]
	v_fma_f64 v[46:47], v[12:13], v[122:123], -v[124:125]
	v_fma_f64 v[38:39], v[52:53], v[126:127], -v[128:129]
	v_add_f64 v[112:113], v[84:85], -v[80:81]
	v_mul_f64 v[108:109], v[14:15], v[108:109]
	v_fmac_f64_e32 v[56:57], v[30:31], v[86:87]
	v_fma_f64 v[86:87], v[32:33], v[86:87], -v[88:89]
	v_fma_f64 v[88:89], v[36:37], v[94:95], -v[96:97]
	v_fmac_f64_e32 v[78:79], v[14:15], v[106:107]
	v_fma_f64 v[96:97], v[8:9], v[114:115], -v[116:117]
	v_fma_f64 v[44:45], v[48:49], v[118:119], -v[120:121]
	v_add_f64 v[48:49], v[46:47], v[38:39]
	v_add_f64 v[116:117], v[82:83], -v[76:77]
	v_mul_f64 v[10:11], v[112:113], s[18:19]
	v_mul_f64 v[72:73], v[20:21], v[100:101]
	v_fmac_f64_e32 v[66:67], v[34:35], v[94:95]
	v_fma_f64 v[94:95], v[16:17], v[106:107], -v[108:109]
	v_add_f64 v[50:51], v[96:97], v[44:45]
	v_add_f64 v[108:109], v[78:79], -v[74:75]
	v_mul_f64 v[12:13], v[116:117], s[20:21]
	v_fma_f64 v[6:7], s[14:15], v[48:49], v[10:11]
	v_mul_f64 v[68:69], v[24:25], v[92:93]
	v_mul_f64 v[92:93], v[22:23], v[92:93]
	;; [unrolled: 1-line block ×3, first 2 shown]
	v_fmac_f64_e32 v[72:73], v[18:19], v[98:99]
	v_add_f64 v[52:53], v[94:95], v[42:43]
	v_mul_f64 v[14:15], v[108:109], s[22:23]
	v_fma_f64 v[8:9], s[12:13], v[50:51], v[12:13]
	v_add_f64 v[6:7], v[4:5], v[6:7]
	v_fmac_f64_e32 v[68:69], v[22:23], v[90:91]
	v_fma_f64 v[90:91], v[24:25], v[90:91], -v[92:93]
	v_fma_f64 v[92:93], v[20:21], v[98:99], -v[100:101]
	;; [unrolled: 1-line block ×3, first 2 shown]
	v_fma_f64 v[16:17], s[16:17], v[52:53], v[14:15]
	v_add_f64 v[6:7], v[8:9], v[6:7]
	v_add_f64 v[118:119], v[72:73], -v[70:71]
	v_add_f64 v[6:7], v[16:17], v[6:7]
	v_mul_f64 v[16:17], v[118:119], s[40:41]
	v_add_f64 v[98:99], v[92:93], v[40:41]
	v_add_f64 v[120:121], v[68:69], -v[66:67]
	v_fma_f64 v[8:9], s[24:25], v[98:99], v[16:17]
	v_mul_f64 v[18:19], v[120:121], s[28:29]
	v_add_f64 v[100:101], v[90:91], v[88:89]
	v_add_f64 v[124:125], v[46:47], -v[38:39]
	v_add_f64 v[6:7], v[8:9], v[6:7]
	v_fma_f64 v[8:9], s[26:27], v[100:101], v[18:19]
	v_add_f64 v[102:103], v[84:85], v[80:81]
	v_mul_f64 v[20:21], v[124:125], s[18:19]
	v_add_f64 v[132:133], v[96:97], -v[44:45]
	v_add_f64 v[6:7], v[8:9], v[6:7]
	v_fma_f64 v[8:9], v[102:103], s[14:15], -v[20:21]
	v_add_f64 v[104:105], v[82:83], v[76:77]
	v_mul_f64 v[22:23], v[132:133], s[20:21]
	v_fma_f64 v[10:11], v[48:49], s[14:15], -v[10:11]
	v_add_f64 v[8:9], v[2:3], v[8:9]
	v_fma_f64 v[24:25], v[104:105], s[12:13], -v[22:23]
	v_add_f64 v[126:127], v[94:95], -v[42:43]
	v_fma_f64 v[12:13], v[50:51], s[12:13], -v[12:13]
	v_add_f64 v[10:11], v[4:5], v[10:11]
	v_add_f64 v[8:9], v[24:25], v[8:9]
	v_add_f64 v[106:107], v[78:79], v[74:75]
	v_mul_f64 v[24:25], v[126:127], s[22:23]
	v_add_f64 v[10:11], v[12:13], v[10:11]
	v_fma_f64 v[12:13], v[52:53], s[16:17], -v[14:15]
	v_fmac_f64_e32 v[64:65], v[26:27], v[54:55]
	v_fma_f64 v[54:55], v[28:29], v[54:55], -v[130:131]
	v_fma_f64 v[26:27], v[106:107], s[16:17], -v[24:25]
	v_add_f64 v[130:131], v[92:93], -v[40:41]
	v_add_f64 v[10:11], v[12:13], v[10:11]
	v_fma_f64 v[12:13], v[98:99], s[24:25], -v[16:17]
	v_add_f64 v[8:9], v[26:27], v[8:9]
	v_add_f64 v[110:111], v[72:73], v[70:71]
	v_mul_f64 v[26:27], v[130:131], s[40:41]
	v_add_f64 v[10:11], v[12:13], v[10:11]
	v_fma_f64 v[12:13], v[100:101], s[26:27], -v[18:19]
	v_fmac_f64_e32 v[20:21], s[14:15], v[102:103]
	v_fma_f64 v[28:29], v[110:111], s[24:25], -v[26:27]
	v_add_f64 v[134:135], v[90:91], -v[88:89]
	v_add_f64 v[10:11], v[12:13], v[10:11]
	v_fmac_f64_e32 v[22:23], s[12:13], v[104:105]
	v_add_f64 v[12:13], v[2:3], v[20:21]
	v_add_f64 v[8:9], v[28:29], v[8:9]
	;; [unrolled: 1-line block ×3, first 2 shown]
	v_mul_f64 v[28:29], v[134:135], s[28:29]
	v_add_f64 v[136:137], v[64:65], -v[56:57]
	v_add_f64 v[12:13], v[22:23], v[12:13]
	v_fmac_f64_e32 v[24:25], s[16:17], v[106:107]
	v_fma_f64 v[30:31], v[114:115], s[26:27], -v[28:29]
	v_mul_f64 v[32:33], v[136:137], s[36:37]
	v_add_f64 v[128:129], v[54:55], v[86:87]
	v_add_f64 v[138:139], v[54:55], -v[86:87]
	v_add_f64 v[12:13], v[24:25], v[12:13]
	v_fmac_f64_e32 v[26:27], s[24:25], v[110:111]
	v_add_f64 v[30:31], v[30:31], v[8:9]
	v_fma_f64 v[8:9], s[30:31], v[128:129], v[32:33]
	v_add_f64 v[122:123], v[64:65], v[56:57]
	v_mul_f64 v[34:35], v[138:139], s[36:37]
	v_add_f64 v[12:13], v[26:27], v[12:13]
	v_fmac_f64_e32 v[28:29], s[26:27], v[114:115]
	v_add_f64 v[8:9], v[8:9], v[6:7]
	v_fma_f64 v[6:7], v[122:123], s[30:31], -v[34:35]
	v_add_f64 v[14:15], v[28:29], v[12:13]
	v_fma_f64 v[12:13], v[128:129], s[30:31], -v[32:33]
	v_fmac_f64_e32 v[34:35], s[30:31], v[122:123]
	v_mul_f64 v[18:19], v[112:113], s[22:23]
	v_add_f64 v[12:13], v[12:13], v[10:11]
	v_add_f64 v[10:11], v[34:35], v[14:15]
	v_fma_f64 v[14:15], s[16:17], v[48:49], v[18:19]
	v_mul_f64 v[20:21], v[116:117], s[36:37]
	v_add_f64 v[14:15], v[4:5], v[14:15]
	v_fma_f64 v[16:17], s[30:31], v[50:51], v[20:21]
	v_mul_f64 v[22:23], v[108:109], s[34:35]
	;; [unrolled: 3-line block ×5, first 2 shown]
	v_add_f64 v[6:7], v[6:7], v[30:31]
	v_add_f64 v[14:15], v[16:17], v[14:15]
	v_fma_f64 v[16:17], v[102:103], s[16:17], -v[28:29]
	v_mul_f64 v[30:31], v[132:133], s[36:37]
	v_fma_f64 v[18:19], v[48:49], s[16:17], -v[18:19]
	v_add_f64 v[16:17], v[2:3], v[16:17]
	v_fma_f64 v[32:33], v[104:105], s[30:31], -v[30:31]
	v_fma_f64 v[20:21], v[50:51], s[30:31], -v[20:21]
	v_add_f64 v[18:19], v[4:5], v[18:19]
	v_add_f64 v[16:17], v[32:33], v[16:17]
	v_mul_f64 v[32:33], v[126:127], s[34:35]
	v_add_f64 v[18:19], v[20:21], v[18:19]
	v_fma_f64 v[20:21], v[52:53], s[24:25], -v[22:23]
	v_fma_f64 v[34:35], v[106:107], s[24:25], -v[32:33]
	v_add_f64 v[18:19], v[20:21], v[18:19]
	v_fma_f64 v[20:21], v[98:99], s[14:15], -v[24:25]
	v_add_f64 v[16:17], v[34:35], v[16:17]
	v_mul_f64 v[34:35], v[130:131], s[44:45]
	v_add_f64 v[18:19], v[20:21], v[18:19]
	v_fma_f64 v[20:21], v[100:101], s[12:13], -v[26:27]
	v_fmac_f64_e32 v[28:29], s[16:17], v[102:103]
	v_fma_f64 v[36:37], v[110:111], s[14:15], -v[34:35]
	v_add_f64 v[18:19], v[20:21], v[18:19]
	v_fmac_f64_e32 v[30:31], s[30:31], v[104:105]
	v_add_f64 v[20:21], v[2:3], v[28:29]
	v_add_f64 v[16:17], v[36:37], v[16:17]
	v_mul_f64 v[36:37], v[134:135], s[20:21]
	v_add_f64 v[20:21], v[30:31], v[20:21]
	v_fmac_f64_e32 v[32:33], s[24:25], v[106:107]
	v_fma_f64 v[140:141], v[114:115], s[12:13], -v[36:37]
	v_mul_f64 v[142:143], v[136:137], s[28:29]
	v_add_f64 v[20:21], v[32:33], v[20:21]
	v_fmac_f64_e32 v[34:35], s[14:15], v[110:111]
	v_add_f64 v[140:141], v[140:141], v[16:17]
	v_fma_f64 v[16:17], s[26:27], v[128:129], v[142:143]
	v_mul_f64 v[144:145], v[138:139], s[28:29]
	v_add_f64 v[20:21], v[34:35], v[20:21]
	v_fmac_f64_e32 v[36:37], s[12:13], v[114:115]
	v_add_f64 v[16:17], v[16:17], v[14:15]
	v_fma_f64 v[14:15], v[122:123], s[26:27], -v[144:145]
	v_add_f64 v[22:23], v[36:37], v[20:21]
	v_fma_f64 v[20:21], v[128:129], s[26:27], -v[142:143]
	v_fmac_f64_e32 v[144:145], s[26:27], v[122:123]
	v_mul_f64 v[26:27], v[112:113], s[28:29]
	v_add_f64 v[20:21], v[20:21], v[18:19]
	v_add_f64 v[18:19], v[144:145], v[22:23]
	v_fma_f64 v[22:23], s[26:27], v[48:49], v[26:27]
	v_mul_f64 v[28:29], v[116:117], s[42:43]
	v_add_f64 v[22:23], v[4:5], v[22:23]
	v_fma_f64 v[24:25], s[16:17], v[50:51], v[28:29]
	v_mul_f64 v[30:31], v[108:109], s[20:21]
	;; [unrolled: 3-line block ×5, first 2 shown]
	v_add_f64 v[14:15], v[14:15], v[140:141]
	v_add_f64 v[22:23], v[24:25], v[22:23]
	v_fma_f64 v[24:25], v[102:103], s[26:27], -v[36:37]
	v_mul_f64 v[140:141], v[132:133], s[42:43]
	v_fma_f64 v[26:27], v[48:49], s[26:27], -v[26:27]
	v_add_f64 v[24:25], v[2:3], v[24:25]
	v_fma_f64 v[142:143], v[104:105], s[16:17], -v[140:141]
	v_fma_f64 v[28:29], v[50:51], s[16:17], -v[28:29]
	v_add_f64 v[26:27], v[4:5], v[26:27]
	v_add_f64 v[24:25], v[142:143], v[24:25]
	v_mul_f64 v[142:143], v[126:127], s[20:21]
	v_add_f64 v[26:27], v[28:29], v[26:27]
	v_fma_f64 v[28:29], v[52:53], s[12:13], -v[30:31]
	v_fma_f64 v[144:145], v[106:107], s[12:13], -v[142:143]
	v_add_f64 v[26:27], v[28:29], v[26:27]
	v_fma_f64 v[28:29], v[98:99], s[30:31], -v[32:33]
	v_add_f64 v[24:25], v[144:145], v[24:25]
	v_mul_f64 v[144:145], v[130:131], s[38:39]
	v_add_f64 v[26:27], v[28:29], v[26:27]
	v_fma_f64 v[28:29], v[100:101], s[14:15], -v[34:35]
	v_fmac_f64_e32 v[36:37], s[26:27], v[102:103]
	v_fma_f64 v[146:147], v[110:111], s[30:31], -v[144:145]
	v_add_f64 v[26:27], v[28:29], v[26:27]
	v_fmac_f64_e32 v[140:141], s[16:17], v[104:105]
	v_add_f64 v[28:29], v[2:3], v[36:37]
	v_add_f64 v[24:25], v[146:147], v[24:25]
	v_mul_f64 v[146:147], v[134:135], s[44:45]
	v_add_f64 v[28:29], v[140:141], v[28:29]
	v_fmac_f64_e32 v[142:143], s[12:13], v[106:107]
	v_fma_f64 v[148:149], v[114:115], s[14:15], -v[146:147]
	v_mul_f64 v[150:151], v[136:137], s[40:41]
	v_add_f64 v[28:29], v[142:143], v[28:29]
	v_fmac_f64_e32 v[144:145], s[30:31], v[110:111]
	v_add_f64 v[148:149], v[148:149], v[24:25]
	v_fma_f64 v[24:25], s[24:25], v[128:129], v[150:151]
	v_mul_f64 v[152:153], v[138:139], s[40:41]
	v_add_f64 v[28:29], v[144:145], v[28:29]
	v_fmac_f64_e32 v[146:147], s[14:15], v[114:115]
	v_add_f64 v[24:25], v[24:25], v[22:23]
	v_fma_f64 v[22:23], v[122:123], s[24:25], -v[152:153]
	v_add_f64 v[30:31], v[146:147], v[28:29]
	v_fma_f64 v[28:29], v[128:129], s[24:25], -v[150:151]
	v_fmac_f64_e32 v[152:153], s[24:25], v[122:123]
	v_mul_f64 v[34:35], v[112:113], s[38:39]
	v_add_f64 v[28:29], v[28:29], v[26:27]
	v_add_f64 v[26:27], v[152:153], v[30:31]
	v_fma_f64 v[30:31], s[30:31], v[48:49], v[34:35]
	v_mul_f64 v[36:37], v[116:117], s[18:19]
	s_mov_b32 s41, 0x3fedeba7
	s_mov_b32 s40, s28
	v_add_f64 v[30:31], v[4:5], v[30:31]
	v_fma_f64 v[32:33], s[14:15], v[50:51], v[36:37]
	v_mul_f64 v[140:141], v[108:109], s[40:41]
	v_add_f64 v[30:31], v[32:33], v[30:31]
	v_fma_f64 v[32:33], s[26:27], v[52:53], v[140:141]
	v_mul_f64 v[142:143], v[118:119], s[20:21]
	;; [unrolled: 3-line block ×4, first 2 shown]
	v_add_f64 v[22:23], v[22:23], v[148:149]
	v_add_f64 v[30:31], v[32:33], v[30:31]
	v_fma_f64 v[32:33], v[102:103], s[30:31], -v[146:147]
	v_mul_f64 v[148:149], v[132:133], s[18:19]
	v_fma_f64 v[34:35], v[48:49], s[30:31], -v[34:35]
	v_add_f64 v[32:33], v[2:3], v[32:33]
	v_fma_f64 v[150:151], v[104:105], s[14:15], -v[148:149]
	v_fma_f64 v[36:37], v[50:51], s[14:15], -v[36:37]
	v_add_f64 v[34:35], v[4:5], v[34:35]
	v_add_f64 v[32:33], v[150:151], v[32:33]
	v_mul_f64 v[150:151], v[126:127], s[40:41]
	v_add_f64 v[34:35], v[36:37], v[34:35]
	v_fma_f64 v[36:37], v[52:53], s[26:27], -v[140:141]
	v_fma_f64 v[152:153], v[106:107], s[26:27], -v[150:151]
	v_add_f64 v[34:35], v[36:37], v[34:35]
	v_fma_f64 v[36:37], v[98:99], s[12:13], -v[142:143]
	v_add_f64 v[32:33], v[152:153], v[32:33]
	v_mul_f64 v[152:153], v[130:131], s[20:21]
	v_add_f64 v[34:35], v[36:37], v[34:35]
	v_fma_f64 v[36:37], v[100:101], s[24:25], -v[144:145]
	v_fmac_f64_e32 v[146:147], s[30:31], v[102:103]
	v_fma_f64 v[154:155], v[110:111], s[12:13], -v[152:153]
	v_add_f64 v[34:35], v[36:37], v[34:35]
	v_fmac_f64_e32 v[148:149], s[14:15], v[104:105]
	v_add_f64 v[36:37], v[2:3], v[146:147]
	v_add_f64 v[32:33], v[154:155], v[32:33]
	v_mul_f64 v[154:155], v[134:135], s[34:35]
	v_add_f64 v[36:37], v[148:149], v[36:37]
	v_fmac_f64_e32 v[150:151], s[26:27], v[106:107]
	v_fma_f64 v[156:157], v[114:115], s[24:25], -v[154:155]
	v_mul_f64 v[158:159], v[136:137], s[22:23]
	v_add_f64 v[36:37], v[150:151], v[36:37]
	v_fmac_f64_e32 v[152:153], s[12:13], v[110:111]
	v_add_f64 v[156:157], v[156:157], v[32:33]
	v_fma_f64 v[32:33], s[16:17], v[128:129], v[158:159]
	v_mul_f64 v[160:161], v[138:139], s[22:23]
	v_add_f64 v[36:37], v[152:153], v[36:37]
	v_fmac_f64_e32 v[154:155], s[24:25], v[114:115]
	v_add_f64 v[32:33], v[32:33], v[30:31]
	v_fma_f64 v[30:31], v[122:123], s[16:17], -v[160:161]
	v_add_f64 v[140:141], v[154:155], v[36:37]
	v_fma_f64 v[36:37], v[128:129], s[16:17], -v[158:159]
	v_fmac_f64_e32 v[160:161], s[16:17], v[122:123]
	v_mul_f64 v[144:145], v[112:113], s[34:35]
	v_add_f64 v[36:37], v[36:37], v[34:35]
	v_add_f64 v[34:35], v[160:161], v[140:141]
	v_fma_f64 v[140:141], s[24:25], v[48:49], v[144:145]
	v_mul_f64 v[146:147], v[116:117], s[28:29]
	v_add_f64 v[140:141], v[4:5], v[140:141]
	v_fma_f64 v[142:143], s[26:27], v[50:51], v[146:147]
	v_mul_f64 v[148:149], v[108:109], s[18:19]
	;; [unrolled: 3-line block ×5, first 2 shown]
	v_add_f64 v[30:31], v[30:31], v[156:157]
	v_add_f64 v[140:141], v[142:143], v[140:141]
	v_fma_f64 v[142:143], v[102:103], s[24:25], -v[154:155]
	v_mul_f64 v[156:157], v[132:133], s[28:29]
	v_fma_f64 v[144:145], v[48:49], s[24:25], -v[144:145]
	v_add_f64 v[142:143], v[2:3], v[142:143]
	v_fma_f64 v[158:159], v[104:105], s[26:27], -v[156:157]
	v_fma_f64 v[146:147], v[50:51], s[26:27], -v[146:147]
	v_add_f64 v[144:145], v[4:5], v[144:145]
	v_add_f64 v[142:143], v[158:159], v[142:143]
	v_mul_f64 v[158:159], v[126:127], s[18:19]
	v_add_f64 v[144:145], v[146:147], v[144:145]
	v_fma_f64 v[146:147], v[52:53], s[14:15], -v[148:149]
	v_fma_f64 v[160:161], v[106:107], s[14:15], -v[158:159]
	v_add_f64 v[144:145], v[146:147], v[144:145]
	v_fma_f64 v[146:147], v[98:99], s[16:17], -v[150:151]
	v_add_f64 v[142:143], v[160:161], v[142:143]
	v_mul_f64 v[160:161], v[130:131], s[42:43]
	v_add_f64 v[144:145], v[146:147], v[144:145]
	v_fma_f64 v[146:147], v[100:101], s[30:31], -v[152:153]
	v_fmac_f64_e32 v[154:155], s[24:25], v[102:103]
	v_fma_f64 v[162:163], v[110:111], s[16:17], -v[160:161]
	v_add_f64 v[144:145], v[146:147], v[144:145]
	v_fmac_f64_e32 v[156:157], s[26:27], v[104:105]
	v_add_f64 v[146:147], v[2:3], v[154:155]
	v_add_f64 v[142:143], v[162:163], v[142:143]
	v_mul_f64 v[162:163], v[134:135], s[36:37]
	v_add_f64 v[146:147], v[156:157], v[146:147]
	v_fmac_f64_e32 v[158:159], s[14:15], v[106:107]
	v_fma_f64 v[164:165], v[114:115], s[30:31], -v[162:163]
	v_mul_f64 v[166:167], v[136:137], s[20:21]
	v_add_f64 v[146:147], v[158:159], v[146:147]
	v_fmac_f64_e32 v[160:161], s[16:17], v[110:111]
	v_add_f64 v[164:165], v[164:165], v[142:143]
	v_fma_f64 v[142:143], s[12:13], v[128:129], v[166:167]
	v_mul_f64 v[168:169], v[138:139], s[20:21]
	v_add_f64 v[146:147], v[160:161], v[146:147]
	v_fmac_f64_e32 v[162:163], s[30:31], v[114:115]
	s_mov_b32 s21, 0xbfddbe06
	v_add_f64 v[142:143], v[142:143], v[140:141]
	v_fma_f64 v[140:141], v[122:123], s[12:13], -v[168:169]
	v_add_f64 v[148:149], v[162:163], v[146:147]
	v_fma_f64 v[146:147], v[128:129], s[12:13], -v[166:167]
	v_fmac_f64_e32 v[168:169], s[12:13], v[122:123]
	v_mul_f64 v[112:113], v[112:113], s[20:21]
	v_add_f64 v[146:147], v[146:147], v[144:145]
	v_add_f64 v[144:145], v[168:169], v[148:149]
	v_mul_f64 v[148:149], v[116:117], s[34:35]
	v_fma_f64 v[116:117], s[12:13], v[48:49], v[112:113]
	v_add_f64 v[116:117], v[4:5], v[116:117]
	v_fma_f64 v[150:151], s[24:25], v[50:51], v[148:149]
	v_mul_f64 v[108:109], v[108:109], s[38:39]
	v_add_f64 v[116:117], v[150:151], v[116:117]
	v_fma_f64 v[150:151], s[30:31], v[52:53], v[108:109]
	v_fma_f64 v[48:49], v[48:49], s[12:13], -v[112:113]
	v_add_f64 v[116:117], v[150:151], v[116:117]
	v_mul_f64 v[150:151], v[118:119], s[28:29]
	v_add_f64 v[48:49], v[4:5], v[48:49]
	v_add_f64 v[4:5], v[4:5], v[46:47]
	v_fma_f64 v[118:119], s[26:27], v[98:99], v[150:151]
	v_mul_f64 v[120:121], v[120:121], s[22:23]
	v_add_f64 v[4:5], v[4:5], v[96:97]
	v_add_f64 v[116:117], v[118:119], v[116:117]
	v_fma_f64 v[118:119], s[16:17], v[100:101], v[120:121]
	v_mul_f64 v[124:125], v[124:125], s[20:21]
	v_add_f64 v[4:5], v[4:5], v[94:95]
	v_add_f64 v[116:117], v[118:119], v[116:117]
	v_fma_f64 v[118:119], v[102:103], s[12:13], -v[124:125]
	v_fma_f64 v[50:51], v[50:51], s[24:25], -v[148:149]
	v_fmac_f64_e32 v[124:125], s[12:13], v[102:103]
	v_add_f64 v[4:5], v[4:5], v[92:93]
	v_add_f64 v[118:119], v[2:3], v[118:119]
	;; [unrolled: 1-line block ×14, first 2 shown]
	v_mul_f64 v[132:133], v[132:133], s[34:35]
	v_add_f64 v[4:5], v[4:5], v[42:43]
	v_add_f64 v[2:3], v[2:3], v[64:65]
	v_fma_f64 v[152:153], v[104:105], s[24:25], -v[132:133]
	v_mul_f64 v[126:127], v[126:127], s[38:39]
	v_add_f64 v[4:5], v[4:5], v[44:45]
	v_add_f64 v[2:3], v[2:3], v[56:57]
	;; [unrolled: 1-line block ×3, first 2 shown]
	v_fma_f64 v[152:153], v[106:107], s[30:31], -v[126:127]
	v_mul_f64 v[130:131], v[130:131], s[28:29]
	v_fmac_f64_e32 v[132:133], s[24:25], v[104:105]
	v_add_f64 v[2:3], v[2:3], v[66:67]
	v_add_f64 v[4:5], v[4:5], v[38:39]
	v_lshrrev_b32_e32 v38, 5, v0
	v_add_f64 v[118:119], v[152:153], v[118:119]
	v_fma_f64 v[152:153], v[110:111], s[26:27], -v[130:131]
	v_mul_f64 v[134:135], v[134:135], s[22:23]
	v_fma_f64 v[52:53], v[52:53], s[30:31], -v[108:109]
	v_fmac_f64_e32 v[126:127], s[30:31], v[106:107]
	v_add_f64 v[50:51], v[132:133], v[50:51]
	v_add_f64 v[2:3], v[2:3], v[70:71]
	v_mul_u32_u24_e32 v38, 52, v38
	v_add_f64 v[118:119], v[152:153], v[118:119]
	v_fma_f64 v[152:153], v[114:115], s[16:17], -v[134:135]
	v_mul_f64 v[136:137], v[136:137], s[18:19]
	v_fma_f64 v[98:99], v[98:99], s[26:27], -v[150:151]
	v_add_f64 v[48:49], v[52:53], v[48:49]
	v_fmac_f64_e32 v[130:131], s[26:27], v[110:111]
	v_add_f64 v[50:51], v[126:127], v[50:51]
	v_add_f64 v[2:3], v[2:3], v[74:75]
	v_or_b32_e32 v38, v38, v63
	v_add_f64 v[152:153], v[152:153], v[118:119]
	v_fma_f64 v[118:119], s[14:15], v[128:129], v[136:137]
	v_mul_f64 v[138:139], v[138:139], s[18:19]
	v_fma_f64 v[100:101], v[100:101], s[16:17], -v[120:121]
	v_add_f64 v[48:49], v[98:99], v[48:49]
	v_fmac_f64_e32 v[134:135], s[16:17], v[114:115]
	v_add_f64 v[50:51], v[130:131], v[50:51]
	v_add_f64 v[2:3], v[2:3], v[76:77]
	v_lshlrev_b32_e32 v38, 7, v38
	v_add_f64 v[118:119], v[118:119], v[116:117]
	v_fma_f64 v[116:117], v[122:123], s[14:15], -v[138:139]
	v_fma_f64 v[128:129], v[128:129], s[14:15], -v[136:137]
	v_add_f64 v[48:49], v[100:101], v[48:49]
	v_fmac_f64_e32 v[138:139], s[14:15], v[122:123]
	v_add_f64 v[52:53], v[134:135], v[50:51]
	v_add_f64 v[2:3], v[2:3], v[80:81]
	v_add3_u32 v38, 0, v38, v61
	v_add_f64 v[140:141], v[140:141], v[164:165]
	v_add_f64 v[116:117], v[116:117], v[152:153]
	;; [unrolled: 1-line block ×4, first 2 shown]
	ds_write_b128 v38, v[2:5]
	ds_write_b128 v38, v[48:51] offset:512
	ds_write_b128 v38, v[144:147] offset:1024
	;; [unrolled: 1-line block ×12, first 2 shown]
.LBB0_14:
	s_or_b64 exec, exec, s[10:11]
	s_waitcnt lgkmcnt(0)
	s_barrier
	s_and_saveexec_b64 s[10:11], s[6:7]
	s_cbranch_execz .LBB0_16
; %bb.15:
	s_movk_i32 s5, 0x4f
	v_mul_lo_u16_sdwa v2, v1, s5 dst_sel:DWORD dst_unused:UNUSED_PAD src0_sel:BYTE_0 src1_sel:DWORD
	v_lshrrev_b16_e32 v2, 12, v2
	v_mul_lo_u16_e32 v2, 52, v2
	s_load_dwordx2 s[0:1], s[0:1], 0x8
	v_sub_u16_e32 v2, v1, v2
	v_and_b32_e32 v80, 0xff, v2
	v_add_u32_e32 v6, 52, v80
	v_lshlrev_b32_e32 v2, 4, v80
	v_mul_lo_u32 v22, v62, v6
	v_mov_b32_e32 v46, 4
	v_mul_lo_u32 v23, v62, v80
	v_mul_lo_u16_sdwa v30, v59, s5 dst_sel:DWORD dst_unused:UNUSED_PAD src0_sel:BYTE_0 src1_sel:DWORD
	global_load_dwordx4 v[2:5], v2, s[2:3] offset:768
	v_lshlrev_b32_sdwa v6, v46, v22 dst_sel:DWORD dst_unused:UNUSED_PAD src0_sel:DWORD src1_sel:BYTE_0
	v_mov_b32_e32 v47, 0x1000
	v_lshlrev_b32_sdwa v19, v46, v23 dst_sel:DWORD dst_unused:UNUSED_PAD src0_sel:DWORD src1_sel:BYTE_0
	v_bfe_u32 v10, v23, 8, 8
	v_lshrrev_b16_e32 v30, 12, v30
	s_waitcnt lgkmcnt(0)
	global_load_dwordx4 v[6:9], v6, s[0:1]
	v_bfe_u32 v18, v22, 8, 8
	v_lshl_or_b32 v20, v10, 4, v47
	global_load_dwordx4 v[10:13], v19, s[0:1]
	global_load_dwordx4 v[14:17], v20, s[0:1]
	v_bfe_u32 v26, v22, 16, 8
	v_mov_b32_e32 v54, 0x2000
	v_bfe_u32 v22, v23, 16, 8
	v_mul_lo_u16_e32 v30, 52, v30
	v_lshl_or_b32 v18, v18, 4, v47
	v_lshl_or_b32 v22, v22, 4, v54
	v_sub_u16_e32 v30, v59, v30
	global_load_dwordx4 v[18:21], v18, s[0:1]
	v_and_b32_e32 v81, 0xff, v30
	global_load_dwordx4 v[22:25], v22, s[0:1]
	v_lshl_or_b32 v26, v26, 4, v54
	v_add_u32_e32 v34, 52, v81
	global_load_dwordx4 v[26:29], v26, s[0:1]
	v_lshlrev_b32_e32 v30, 4, v81
	v_mul_lo_u32 v42, v62, v34
	global_load_dwordx4 v[30:33], v30, s[2:3] offset:768
	v_lshlrev_b32_sdwa v43, v46, v42 dst_sel:DWORD dst_unused:UNUSED_PAD src0_sel:DWORD src1_sel:BYTE_0
	v_bfe_u32 v34, v42, 8, 8
	v_lshl_or_b32 v44, v34, 4, v47
	global_load_dwordx4 v[34:37], v43, s[0:1]
	global_load_dwordx4 v[38:41], v44, s[0:1]
	v_bfe_u32 v42, v42, 16, 8
	v_lshl_or_b32 v42, v42, 4, v54
	global_load_dwordx4 v[42:45], v42, s[0:1]
	v_mul_lo_u32 v55, v62, v81
	v_lshlrev_b32_sdwa v56, v46, v55 dst_sel:DWORD dst_unused:UNUSED_PAD src0_sel:DWORD src1_sel:BYTE_0
	v_bfe_u32 v46, v55, 8, 8
	v_lshl_or_b32 v57, v46, 4, v47
	global_load_dwordx4 v[46:49], v56, s[0:1]
	global_load_dwordx4 v[50:53], v57, s[0:1]
	v_bfe_u32 v55, v55, 16, 8
	v_lshl_or_b32 v54, v55, 4, v54
	global_load_dwordx4 v[54:57], v54, s[0:1]
	v_lshlrev_b32_e32 v59, 7, v59
	v_add3_u32 v59, 0, v59, v61
	ds_read_b128 v[62:65], v59 offset:9984
	v_lshlrev_b32_e32 v66, 7, v1
	v_add3_u32 v61, 0, v66, v61
	ds_read_b128 v[66:69], v61
	ds_read_b128 v[70:73], v59
	ds_read_b128 v[74:77], v59 offset:6656
	s_movk_i32 s0, 0x4ec5
	v_mul_u32_u24_sdwa v0, v0, s0 dst_sel:DWORD dst_unused:UNUSED_PAD src0_sel:WORD_0 src1_sel:DWORD
	v_lshrrev_b32_e32 v0, 23, v0
	v_mul_lo_u16_e32 v0, 0x68, v0
	v_add_u32_e32 v59, v0, v81
	v_add_u32_e32 v0, v58, v60
	s_waitcnt vmcnt(13) lgkmcnt(3)
	v_mul_f64 v[78:79], v[62:63], v[4:5]
	v_mul_f64 v[4:5], v[64:65], v[4:5]
	v_fma_f64 v[64:65], v[64:65], v[2:3], -v[78:79]
	v_fmac_f64_e32 v[4:5], v[62:63], v[2:3]
	s_waitcnt lgkmcnt(2)
	v_add_f64 v[62:63], v[68:69], -v[64:65]
	v_add_f64 v[64:65], v[66:67], -v[4:5]
	v_fma_f64 v[68:69], v[68:69], 2.0, -v[62:63]
	s_waitcnt vmcnt(10)
	v_mul_f64 v[2:3], v[12:13], v[16:17]
	v_mul_f64 v[4:5], v[10:11], v[16:17]
	v_fma_f64 v[2:3], v[10:11], v[14:15], -v[2:3]
	v_fmac_f64_e32 v[4:5], v[12:13], v[14:15]
	v_fma_f64 v[10:11], v[66:67], 2.0, -v[64:65]
	s_waitcnt vmcnt(9)
	v_mul_f64 v[16:17], v[8:9], v[20:21]
	v_mul_f64 v[20:21], v[6:7], v[20:21]
	s_waitcnt vmcnt(8)
	v_mul_f64 v[12:13], v[2:3], v[24:25]
	v_fma_f64 v[6:7], v[6:7], v[18:19], -v[16:17]
	v_fmac_f64_e32 v[20:21], v[8:9], v[18:19]
	v_mul_f64 v[8:9], v[4:5], v[24:25]
	v_fmac_f64_e32 v[12:13], v[22:23], v[4:5]
	s_waitcnt vmcnt(7)
	v_mul_f64 v[16:17], v[6:7], v[28:29]
	v_fma_f64 v[18:19], v[22:23], v[2:3], -v[8:9]
	v_mul_f64 v[2:3], v[68:69], v[12:13]
	v_mul_f64 v[14:15], v[20:21], v[28:29]
	v_fmac_f64_e32 v[16:17], v[26:27], v[20:21]
	v_mul_f64 v[4:5], v[10:11], v[12:13]
	v_fmac_f64_e32 v[2:3], v[10:11], v[18:19]
	s_waitcnt vmcnt(6) lgkmcnt(0)
	v_mul_f64 v[10:11], v[74:75], v[32:33]
	v_fma_f64 v[14:15], v[26:27], v[6:7], -v[14:15]
	v_mul_f64 v[8:9], v[64:65], v[16:17]
	v_mul_f64 v[6:7], v[62:63], v[16:17]
	v_fma_f64 v[10:11], v[76:77], v[30:31], -v[10:11]
	s_waitcnt vmcnt(4)
	v_mul_f64 v[12:13], v[34:35], v[40:41]
	v_fma_f64 v[8:9], v[62:63], v[14:15], -v[8:9]
	v_fmac_f64_e32 v[6:7], v[64:65], v[14:15]
	v_add_f64 v[14:15], v[72:73], -v[10:11]
	v_mul_f64 v[10:11], v[36:37], v[40:41]
	v_fmac_f64_e32 v[12:13], v[36:37], v[38:39]
	v_fma_f64 v[4:5], v[68:69], v[18:19], -v[4:5]
	v_fma_f64 v[10:11], v[34:35], v[38:39], -v[10:11]
	s_waitcnt vmcnt(3)
	v_mul_f64 v[16:17], v[12:13], v[44:45]
	v_mul_f64 v[18:19], v[76:77], v[32:33]
	v_fma_f64 v[16:17], v[42:43], v[10:11], -v[16:17]
	v_fmac_f64_e32 v[18:19], v[74:75], v[30:31]
	v_mul_f64 v[10:11], v[10:11], v[44:45]
	v_add_f64 v[18:19], v[70:71], -v[18:19]
	v_fmac_f64_e32 v[10:11], v[42:43], v[12:13]
	v_mul_f64 v[12:13], v[18:19], v[10:11]
	v_mul_f64 v[10:11], v[14:15], v[10:11]
	v_fma_f64 v[12:13], v[14:15], v[16:17], -v[12:13]
	v_fmac_f64_e32 v[10:11], v[18:19], v[16:17]
	s_waitcnt vmcnt(1)
	v_mul_f64 v[16:17], v[48:49], v[52:53]
	v_fma_f64 v[16:17], v[46:47], v[50:51], -v[16:17]
	v_mul_f64 v[24:25], v[46:47], v[52:53]
	v_fmac_f64_e32 v[24:25], v[50:51], v[48:49]
	s_waitcnt vmcnt(0)
	v_mul_f64 v[28:29], v[56:57], v[16:17]
	v_mul_f64 v[26:27], v[56:57], v[24:25]
	v_fma_f64 v[18:19], v[70:71], 2.0, -v[18:19]
	v_fmac_f64_e32 v[28:29], v[54:55], v[24:25]
	v_mad_u64_u32 v[20:21], s[0:1], s4, v59, v[0:1]
	v_fma_f64 v[14:15], v[72:73], 2.0, -v[14:15]
	v_fma_f64 v[26:27], v[54:55], v[16:17], -v[26:27]
	v_mul_f64 v[16:17], v[18:19], v[28:29]
	v_mov_b32_e32 v21, 0
	v_fma_f64 v[16:17], v[14:15], v[26:27], -v[16:17]
	v_mul_f64 v[14:15], v[14:15], v[28:29]
	v_lshl_add_u64 v[22:23], v[20:21], 4, s[8:9]
	v_fmac_f64_e32 v[14:15], v[18:19], v[26:27]
	global_store_dwordx4 v[22:23], v[14:17], off
	s_nop 1
	v_add_u32_e32 v14, 52, v59
	v_mad_u64_u32 v[14:15], s[0:1], s4, v14, v[0:1]
	v_mov_b32_e32 v15, v21
	v_lshl_add_u64 v[14:15], v[14:15], 4, s[8:9]
	global_store_dwordx4 v[14:15], v[10:13], off
	s_nop 1
	v_sub_u32_e32 v10, v1, v80
	v_add_u32_e32 v1, v10, v1
	v_mad_u64_u32 v[10:11], s[0:1], s4, v1, v[0:1]
	v_add_u32_e32 v1, 52, v1
	v_mad_u64_u32 v[0:1], s[0:1], s4, v1, v[0:1]
	v_mov_b32_e32 v11, v21
	v_mov_b32_e32 v1, v21
	v_lshl_add_u64 v[10:11], v[10:11], 4, s[8:9]
	v_lshl_add_u64 v[0:1], v[0:1], 4, s[8:9]
	global_store_dwordx4 v[10:11], v[2:5], off
	global_store_dwordx4 v[0:1], v[6:9], off
.LBB0_16:
	s_endpgm
	.section	.rodata,"a",@progbits
	.p2align	6, 0x0
	.amdhsa_kernel fft_rtc_back_len104_factors_4_13_2_wgs_208_tpt_26_dim2_dp_ip_CI_sbcc_twdbase8_3step_dirReg_intrinsicReadWrite
		.amdhsa_group_segment_fixed_size 0
		.amdhsa_private_segment_fixed_size 0
		.amdhsa_kernarg_size 88
		.amdhsa_user_sgpr_count 2
		.amdhsa_user_sgpr_dispatch_ptr 0
		.amdhsa_user_sgpr_queue_ptr 0
		.amdhsa_user_sgpr_kernarg_segment_ptr 1
		.amdhsa_user_sgpr_dispatch_id 0
		.amdhsa_user_sgpr_kernarg_preload_length 0
		.amdhsa_user_sgpr_kernarg_preload_offset 0
		.amdhsa_user_sgpr_private_segment_size 0
		.amdhsa_uses_dynamic_stack 0
		.amdhsa_enable_private_segment 0
		.amdhsa_system_sgpr_workgroup_id_x 1
		.amdhsa_system_sgpr_workgroup_id_y 0
		.amdhsa_system_sgpr_workgroup_id_z 0
		.amdhsa_system_sgpr_workgroup_info 0
		.amdhsa_system_vgpr_workitem_id 0
		.amdhsa_next_free_vgpr 170
		.amdhsa_next_free_sgpr 46
		.amdhsa_accum_offset 172
		.amdhsa_reserve_vcc 1
		.amdhsa_float_round_mode_32 0
		.amdhsa_float_round_mode_16_64 0
		.amdhsa_float_denorm_mode_32 3
		.amdhsa_float_denorm_mode_16_64 3
		.amdhsa_dx10_clamp 1
		.amdhsa_ieee_mode 1
		.amdhsa_fp16_overflow 0
		.amdhsa_tg_split 0
		.amdhsa_exception_fp_ieee_invalid_op 0
		.amdhsa_exception_fp_denorm_src 0
		.amdhsa_exception_fp_ieee_div_zero 0
		.amdhsa_exception_fp_ieee_overflow 0
		.amdhsa_exception_fp_ieee_underflow 0
		.amdhsa_exception_fp_ieee_inexact 0
		.amdhsa_exception_int_div_zero 0
	.end_amdhsa_kernel
	.text
.Lfunc_end0:
	.size	fft_rtc_back_len104_factors_4_13_2_wgs_208_tpt_26_dim2_dp_ip_CI_sbcc_twdbase8_3step_dirReg_intrinsicReadWrite, .Lfunc_end0-fft_rtc_back_len104_factors_4_13_2_wgs_208_tpt_26_dim2_dp_ip_CI_sbcc_twdbase8_3step_dirReg_intrinsicReadWrite
                                        ; -- End function
	.section	.AMDGPU.csdata,"",@progbits
; Kernel info:
; codeLenInByte = 6076
; NumSgprs: 52
; NumVgprs: 170
; NumAgprs: 0
; TotalNumVgprs: 170
; ScratchSize: 0
; MemoryBound: 0
; FloatMode: 240
; IeeeMode: 1
; LDSByteSize: 0 bytes/workgroup (compile time only)
; SGPRBlocks: 6
; VGPRBlocks: 21
; NumSGPRsForWavesPerEU: 52
; NumVGPRsForWavesPerEU: 170
; AccumOffset: 172
; Occupancy: 2
; WaveLimiterHint : 1
; COMPUTE_PGM_RSRC2:SCRATCH_EN: 0
; COMPUTE_PGM_RSRC2:USER_SGPR: 2
; COMPUTE_PGM_RSRC2:TRAP_HANDLER: 0
; COMPUTE_PGM_RSRC2:TGID_X_EN: 1
; COMPUTE_PGM_RSRC2:TGID_Y_EN: 0
; COMPUTE_PGM_RSRC2:TGID_Z_EN: 0
; COMPUTE_PGM_RSRC2:TIDIG_COMP_CNT: 0
; COMPUTE_PGM_RSRC3_GFX90A:ACCUM_OFFSET: 42
; COMPUTE_PGM_RSRC3_GFX90A:TG_SPLIT: 0
	.text
	.p2alignl 6, 3212836864
	.fill 256, 4, 3212836864
	.type	__hip_cuid_4bb72df3a744133d,@object ; @__hip_cuid_4bb72df3a744133d
	.section	.bss,"aw",@nobits
	.globl	__hip_cuid_4bb72df3a744133d
__hip_cuid_4bb72df3a744133d:
	.byte	0                               ; 0x0
	.size	__hip_cuid_4bb72df3a744133d, 1

	.ident	"AMD clang version 19.0.0git (https://github.com/RadeonOpenCompute/llvm-project roc-6.4.0 25133 c7fe45cf4b819c5991fe208aaa96edf142730f1d)"
	.section	".note.GNU-stack","",@progbits
	.addrsig
	.addrsig_sym __hip_cuid_4bb72df3a744133d
	.amdgpu_metadata
---
amdhsa.kernels:
  - .agpr_count:     0
    .args:
      - .actual_access:  read_only
        .address_space:  global
        .offset:         0
        .size:           8
        .value_kind:     global_buffer
      - .address_space:  global
        .offset:         8
        .size:           8
        .value_kind:     global_buffer
      - .actual_access:  read_only
        .address_space:  global
        .offset:         16
        .size:           8
        .value_kind:     global_buffer
      - .actual_access:  read_only
        .address_space:  global
        .offset:         24
        .size:           8
        .value_kind:     global_buffer
      - .offset:         32
        .size:           8
        .value_kind:     by_value
      - .actual_access:  read_only
        .address_space:  global
        .offset:         40
        .size:           8
        .value_kind:     global_buffer
      - .actual_access:  read_only
        .address_space:  global
        .offset:         48
        .size:           8
        .value_kind:     global_buffer
      - .offset:         56
        .size:           4
        .value_kind:     by_value
      - .actual_access:  read_only
        .address_space:  global
        .offset:         64
        .size:           8
        .value_kind:     global_buffer
      - .actual_access:  read_only
        .address_space:  global
        .offset:         72
        .size:           8
        .value_kind:     global_buffer
      - .address_space:  global
        .offset:         80
        .size:           8
        .value_kind:     global_buffer
    .group_segment_fixed_size: 0
    .kernarg_segment_align: 8
    .kernarg_segment_size: 88
    .language:       OpenCL C
    .language_version:
      - 2
      - 0
    .max_flat_workgroup_size: 208
    .name:           fft_rtc_back_len104_factors_4_13_2_wgs_208_tpt_26_dim2_dp_ip_CI_sbcc_twdbase8_3step_dirReg_intrinsicReadWrite
    .private_segment_fixed_size: 0
    .sgpr_count:     52
    .sgpr_spill_count: 0
    .symbol:         fft_rtc_back_len104_factors_4_13_2_wgs_208_tpt_26_dim2_dp_ip_CI_sbcc_twdbase8_3step_dirReg_intrinsicReadWrite.kd
    .uniform_work_group_size: 1
    .uses_dynamic_stack: false
    .vgpr_count:     170
    .vgpr_spill_count: 0
    .wavefront_size: 64
amdhsa.target:   amdgcn-amd-amdhsa--gfx950
amdhsa.version:
  - 1
  - 2
...

	.end_amdgpu_metadata
